;; amdgpu-corpus repo=zjin-lcf/HeCBench kind=compiled arch=gfx1250 opt=O3
	.amdgcn_target "amdgcn-amd-amdhsa--gfx1250"
	.amdhsa_code_object_version 6
	.text
	.protected	_Z19kernel_layerforwardPKfPfS1_i ; -- Begin function _Z19kernel_layerforwardPKfPfS1_i
	.globl	_Z19kernel_layerforwardPKfPfS1_i
	.p2align	8
	.type	_Z19kernel_layerforwardPKfPfS1_i,@function
_Z19kernel_layerforwardPKfPfS1_i:       ; @_Z19kernel_layerforwardPKfPfS1_i
; %bb.0:
	s_load_b64 s[4:5], s[0:1], 0x8
	s_bfe_u32 s2, ttmp6, 0x40010
	s_bfe_u32 s3, ttmp6, 0x40004
	s_add_co_i32 s2, s2, 1
	s_getreg_b32 s6, hwreg(HW_REG_IB_STS2, 6, 4)
	s_mul_i32 s2, ttmp7, s2
	v_bfe_u32 v2, v0, 10, 10
	s_add_co_i32 s3, s3, s2
	v_and_b32_e32 v4, 0x3ff, v0
	s_cmp_eq_u32 s6, 0
	s_cselect_b32 s3, ttmp7, s3
	v_lshlrev_b32_e32 v1, 2, v2
	v_lshl_add_u32 v0, s3, 4, v2
	v_cmp_eq_u32_e32 vcc_lo, 0, v4
	s_and_saveexec_b32 s2, vcc_lo
	s_cbranch_execz .LBB0_2
; %bb.1:
	s_load_b64 s[6:7], s[0:1], 0x0
	s_wait_kmcnt 0x0
	global_load_b32 v3, v0, s[6:7] offset:4 scale_offset
	s_wait_loadcnt 0x0
	ds_store_b32 v1, v3 offset:1024
.LBB0_2:
	s_or_b32 exec_lo, exec_lo, s2
	s_load_b32 s6, s[0:1], 0x18
	s_wait_dscnt 0x0
	s_barrier_signal -1
	s_barrier_wait -1
	s_mov_b32 s7, exec_lo
	s_wait_kmcnt 0x0
	s_add_co_i32 s2, s6, 1
	s_delay_alu instid0(SALU_CYCLE_1) | instskip(SKIP_1) | instid1(VALU_DEP_1)
	v_mul_lo_u32 v0, v0, s2
	v_dual_add_nc_u32 v3, s2, v4 :: v_dual_lshlrev_b32 v4, 2, v4
	v_add3_u32 v0, v3, v0, 1
	v_lshlrev_b32_e32 v3, 6, v2
	global_load_b32 v5, v0, s[4:5] scale_offset
	v_add_nc_u32_e32 v4, v3, v4
	s_wait_loadcnt 0x0
	ds_store_b32 v4, v5
	s_wait_dscnt 0x0
	s_barrier_signal -1
	s_barrier_wait -1
	ds_load_b32 v5, v4
	ds_load_b32 v1, v1 offset:1024
	s_wait_dscnt 0x0
	v_dual_mul_f32 v1, v5, v1 :: v_dual_bitop2_b32 v5, 1, v2 bitop3:0x40
	ds_store_b32 v4, v1
	s_wait_dscnt 0x0
	s_barrier_signal -1
	s_barrier_wait -1
	ds_load_b32 v1, v4
	s_wait_dscnt 0x0
	v_add_f32_e32 v1, v1, v1
	ds_store_b32 v4, v1
	s_wait_dscnt 0x0
	s_barrier_signal -1
	s_barrier_wait -1
	v_cmpx_eq_u32_e32 0, v5
	s_cbranch_execz .LBB0_4
; %bb.3:
	ds_load_2addr_b32 v[6:7], v4 offset1:16
	s_wait_dscnt 0x0
	v_add_f32_e32 v1, v6, v7
	ds_store_b32 v4, v1
.LBB0_4:
	s_or_b32 exec_lo, exec_lo, s7
	v_dual_ashrrev_i32 v1, 31, v0 :: v_dual_bitop2_b32 v5, 3, v2 bitop3:0x40
	s_mov_b32 s7, exec_lo
	s_wait_dscnt 0x0
	s_barrier_signal -1
	s_barrier_wait -1
	v_cmpx_eq_u32_e32 0, v5
	s_cbranch_execz .LBB0_6
; %bb.5:
	ds_load_2addr_b32 v[6:7], v4 offset1:32
	s_wait_dscnt 0x0
	v_add_f32_e32 v5, v6, v7
	ds_store_b32 v4, v5
.LBB0_6:
	s_or_b32 exec_lo, exec_lo, s7
	v_and_b32_e32 v5, 7, v2
	s_mov_b32 s7, exec_lo
	s_wait_dscnt 0x0
	s_barrier_signal -1
	s_barrier_wait -1
	v_cmpx_eq_u32_e32 0, v5
	s_cbranch_execz .LBB0_8
; %bb.7:
	ds_load_2addr_stride64_b32 v[6:7], v4 offset1:1
	s_wait_dscnt 0x0
	v_add_f32_e32 v5, v6, v7
	ds_store_b32 v4, v5
.LBB0_8:
	s_or_b32 exec_lo, exec_lo, s7
	v_and_b32_e32 v5, 15, v2
	v_lshl_add_u64 v[0:1], v[0:1], 2, s[4:5]
	s_mov_b32 s4, exec_lo
	s_wait_dscnt 0x0
	s_barrier_signal -1
	s_barrier_wait -1
	v_cmpx_eq_u32_e32 0, v5
	s_cbranch_execz .LBB0_10
; %bb.9:
	ds_load_2addr_stride64_b32 v[6:7], v4 offset1:2
	s_wait_dscnt 0x0
	v_add_f32_e32 v5, v6, v7
	ds_store_b32 v4, v5
.LBB0_10:
	s_or_b32 exec_lo, exec_lo, s4
	s_wait_dscnt 0x0
	s_barrier_signal -1
	s_barrier_wait -1
	ds_load_b32 v4, v4
	s_wait_dscnt 0x0
	global_store_b32 v[0:1], v4, off
	s_wait_storecnt 0x0
	s_barrier_signal -1
	s_barrier_wait -1
	s_wait_xcnt 0x0
	s_and_saveexec_b32 s2, vcc_lo
	s_cbranch_execz .LBB0_12
; %bb.11:
	v_mad_i32_i24 v0, 0xffffffc4, v2, v3
	s_load_b64 s[0:1], s[0:1], 0x10
	v_mad_u32 v1, s6, s3, v2
	ds_load_b32 v0, v0
	s_wait_dscnt 0x0
	s_wait_kmcnt 0x0
	global_store_b32 v1, v0, s[0:1] scale_offset
.LBB0_12:
	s_endpgm
	.section	.rodata,"a",@progbits
	.p2align	6, 0x0
	.amdhsa_kernel _Z19kernel_layerforwardPKfPfS1_i
		.amdhsa_group_segment_fixed_size 1088
		.amdhsa_private_segment_fixed_size 0
		.amdhsa_kernarg_size 28
		.amdhsa_user_sgpr_count 2
		.amdhsa_user_sgpr_dispatch_ptr 0
		.amdhsa_user_sgpr_queue_ptr 0
		.amdhsa_user_sgpr_kernarg_segment_ptr 1
		.amdhsa_user_sgpr_dispatch_id 0
		.amdhsa_user_sgpr_kernarg_preload_length 0
		.amdhsa_user_sgpr_kernarg_preload_offset 0
		.amdhsa_user_sgpr_private_segment_size 0
		.amdhsa_wavefront_size32 1
		.amdhsa_uses_dynamic_stack 0
		.amdhsa_enable_private_segment 0
		.amdhsa_system_sgpr_workgroup_id_x 1
		.amdhsa_system_sgpr_workgroup_id_y 1
		.amdhsa_system_sgpr_workgroup_id_z 0
		.amdhsa_system_sgpr_workgroup_info 0
		.amdhsa_system_vgpr_workitem_id 1
		.amdhsa_next_free_vgpr 8
		.amdhsa_next_free_sgpr 8
		.amdhsa_named_barrier_count 0
		.amdhsa_reserve_vcc 1
		.amdhsa_float_round_mode_32 0
		.amdhsa_float_round_mode_16_64 0
		.amdhsa_float_denorm_mode_32 3
		.amdhsa_float_denorm_mode_16_64 3
		.amdhsa_fp16_overflow 0
		.amdhsa_memory_ordered 1
		.amdhsa_forward_progress 1
		.amdhsa_inst_pref_size 6
		.amdhsa_round_robin_scheduling 0
		.amdhsa_exception_fp_ieee_invalid_op 0
		.amdhsa_exception_fp_denorm_src 0
		.amdhsa_exception_fp_ieee_div_zero 0
		.amdhsa_exception_fp_ieee_overflow 0
		.amdhsa_exception_fp_ieee_underflow 0
		.amdhsa_exception_fp_ieee_inexact 0
		.amdhsa_exception_int_div_zero 0
	.end_amdhsa_kernel
	.text
.Lfunc_end0:
	.size	_Z19kernel_layerforwardPKfPfS1_i, .Lfunc_end0-_Z19kernel_layerforwardPKfPfS1_i
                                        ; -- End function
	.set _Z19kernel_layerforwardPKfPfS1_i.num_vgpr, 8
	.set _Z19kernel_layerforwardPKfPfS1_i.num_agpr, 0
	.set _Z19kernel_layerforwardPKfPfS1_i.numbered_sgpr, 8
	.set _Z19kernel_layerforwardPKfPfS1_i.num_named_barrier, 0
	.set _Z19kernel_layerforwardPKfPfS1_i.private_seg_size, 0
	.set _Z19kernel_layerforwardPKfPfS1_i.uses_vcc, 1
	.set _Z19kernel_layerforwardPKfPfS1_i.uses_flat_scratch, 0
	.set _Z19kernel_layerforwardPKfPfS1_i.has_dyn_sized_stack, 0
	.set _Z19kernel_layerforwardPKfPfS1_i.has_recursion, 0
	.set _Z19kernel_layerforwardPKfPfS1_i.has_indirect_call, 0
	.section	.AMDGPU.csdata,"",@progbits
; Kernel info:
; codeLenInByte = 664
; TotalNumSgprs: 10
; NumVgprs: 8
; ScratchSize: 0
; MemoryBound: 0
; FloatMode: 240
; IeeeMode: 1
; LDSByteSize: 1088 bytes/workgroup (compile time only)
; SGPRBlocks: 0
; VGPRBlocks: 0
; NumSGPRsForWavesPerEU: 10
; NumVGPRsForWavesPerEU: 8
; NamedBarCnt: 0
; Occupancy: 16
; WaveLimiterHint : 0
; COMPUTE_PGM_RSRC2:SCRATCH_EN: 0
; COMPUTE_PGM_RSRC2:USER_SGPR: 2
; COMPUTE_PGM_RSRC2:TRAP_HANDLER: 0
; COMPUTE_PGM_RSRC2:TGID_X_EN: 1
; COMPUTE_PGM_RSRC2:TGID_Y_EN: 1
; COMPUTE_PGM_RSRC2:TGID_Z_EN: 0
; COMPUTE_PGM_RSRC2:TIDIG_COMP_CNT: 1
	.text
	.protected	_Z21kernel_adjust_weightsPKfPfS0_S1_i ; -- Begin function _Z21kernel_adjust_weightsPKfPfS0_S1_i
	.globl	_Z21kernel_adjust_weightsPKfPfS0_S1_i
	.p2align	8
	.type	_Z21kernel_adjust_weightsPKfPfS0_S1_i,@function
_Z21kernel_adjust_weightsPKfPfS0_S1_i:  ; @_Z21kernel_adjust_weightsPKfPfS0_S1_i
; %bb.0:
	s_load_b32 s2, s[0:1], 0x20
	s_bfe_u32 s3, ttmp6, 0x40010
	s_bfe_u32 s4, ttmp6, 0x40004
	s_add_co_i32 s3, s3, 1
	s_getreg_b32 s5, hwreg(HW_REG_IB_STS2, 6, 4)
	s_mul_i32 s3, ttmp7, s3
	v_bfe_u32 v3, v0, 10, 10
	s_add_co_i32 s4, s4, s3
	v_and_b32_e32 v2, 0x3ff, v0
	s_wait_kmcnt 0x0
	s_add_co_i32 s2, s2, 1
	s_cmp_eq_u32 s5, 0
	s_delay_alu instid0(VALU_DEP_1)
	v_add_nc_u32_e32 v0, s2, v2
	s_cselect_b32 s3, ttmp7, s4
	s_load_b256 s[4:11], s[0:1], 0x0
	v_lshl_add_u32 v4, s3, 4, v3
	s_wait_xcnt 0x0
	s_mov_b32 s0, 0x3e99999a
	s_delay_alu instid0(VALU_DEP_1) | instskip(NEXT) | instid1(VALU_DEP_1)
	v_mul_lo_u32 v1, v4, s2
	v_add3_u32 v6, v0, v1, 1
	s_wait_kmcnt 0x0
	global_load_b32 v0, v2, s[8:9] offset:4 scale_offset
	global_load_b32 v1, v6, s[10:11] scale_offset
	global_load_b32 v7, v4, s[4:5] offset:4 scale_offset
	global_load_b32 v8, v6, s[6:7] scale_offset
	s_wait_loadcnt 0x2
	s_wait_xcnt 0x1
	v_pk_mul_f32 v[4:5], v[0:1], s[0:1] op_sel_hi:[1,0]
	s_mov_b32 s1, exec_lo
	s_wait_loadcnt 0x1
	s_delay_alu instid0(VALU_DEP_1) | instskip(SKIP_1) | instid1(VALU_DEP_1)
	v_fmac_f32_e32 v5, v4, v7
	s_wait_loadcnt 0x0
	v_dual_add_f32 v3, v8, v5 :: v_dual_bitop2_b32 v1, s3, v3 bitop3:0x54
	s_clause 0x1
	global_store_b32 v6, v3, s[6:7] scale_offset
	global_store_b32 v6, v5, s[10:11] scale_offset
	s_wait_storecnt 0x0
	s_barrier_signal -1
	s_barrier_wait -1
	s_wait_xcnt 0x0
	v_cmpx_eq_u32_e32 0, v1
	s_cbranch_execz .LBB1_2
; %bb.1:
	s_clause 0x1
	global_load_b32 v1, v2, s[10:11] offset:4 scale_offset
	global_load_b32 v3, v2, s[6:7] offset:4 scale_offset
	s_wait_loadcnt 0x1
	v_pk_mul_f32 v[0:1], v[0:1], s[0:1] op_sel_hi:[1,0]
	s_delay_alu instid0(VALU_DEP_1) | instskip(SKIP_1) | instid1(VALU_DEP_1)
	v_add_f32_e32 v0, v0, v1
	s_wait_loadcnt 0x0
	v_add_f32_e32 v1, v3, v0
	s_clause 0x1
	global_store_b32 v2, v1, s[6:7] offset:4 scale_offset
	global_store_b32 v2, v0, s[10:11] offset:4 scale_offset
.LBB1_2:
	s_endpgm
	.section	.rodata,"a",@progbits
	.p2align	6, 0x0
	.amdhsa_kernel _Z21kernel_adjust_weightsPKfPfS0_S1_i
		.amdhsa_group_segment_fixed_size 0
		.amdhsa_private_segment_fixed_size 0
		.amdhsa_kernarg_size 36
		.amdhsa_user_sgpr_count 2
		.amdhsa_user_sgpr_dispatch_ptr 0
		.amdhsa_user_sgpr_queue_ptr 0
		.amdhsa_user_sgpr_kernarg_segment_ptr 1
		.amdhsa_user_sgpr_dispatch_id 0
		.amdhsa_user_sgpr_kernarg_preload_length 0
		.amdhsa_user_sgpr_kernarg_preload_offset 0
		.amdhsa_user_sgpr_private_segment_size 0
		.amdhsa_wavefront_size32 1
		.amdhsa_uses_dynamic_stack 0
		.amdhsa_enable_private_segment 0
		.amdhsa_system_sgpr_workgroup_id_x 1
		.amdhsa_system_sgpr_workgroup_id_y 1
		.amdhsa_system_sgpr_workgroup_id_z 0
		.amdhsa_system_sgpr_workgroup_info 0
		.amdhsa_system_vgpr_workitem_id 1
		.amdhsa_next_free_vgpr 9
		.amdhsa_next_free_sgpr 12
		.amdhsa_named_barrier_count 0
		.amdhsa_reserve_vcc 0
		.amdhsa_float_round_mode_32 0
		.amdhsa_float_round_mode_16_64 0
		.amdhsa_float_denorm_mode_32 3
		.amdhsa_float_denorm_mode_16_64 3
		.amdhsa_fp16_overflow 0
		.amdhsa_memory_ordered 1
		.amdhsa_forward_progress 1
		.amdhsa_inst_pref_size 3
		.amdhsa_round_robin_scheduling 0
		.amdhsa_exception_fp_ieee_invalid_op 0
		.amdhsa_exception_fp_denorm_src 0
		.amdhsa_exception_fp_ieee_div_zero 0
		.amdhsa_exception_fp_ieee_overflow 0
		.amdhsa_exception_fp_ieee_underflow 0
		.amdhsa_exception_fp_ieee_inexact 0
		.amdhsa_exception_int_div_zero 0
	.end_amdhsa_kernel
	.text
.Lfunc_end1:
	.size	_Z21kernel_adjust_weightsPKfPfS0_S1_i, .Lfunc_end1-_Z21kernel_adjust_weightsPKfPfS0_S1_i
                                        ; -- End function
	.set _Z21kernel_adjust_weightsPKfPfS0_S1_i.num_vgpr, 9
	.set _Z21kernel_adjust_weightsPKfPfS0_S1_i.num_agpr, 0
	.set _Z21kernel_adjust_weightsPKfPfS0_S1_i.numbered_sgpr, 12
	.set _Z21kernel_adjust_weightsPKfPfS0_S1_i.num_named_barrier, 0
	.set _Z21kernel_adjust_weightsPKfPfS0_S1_i.private_seg_size, 0
	.set _Z21kernel_adjust_weightsPKfPfS0_S1_i.uses_vcc, 0
	.set _Z21kernel_adjust_weightsPKfPfS0_S1_i.uses_flat_scratch, 0
	.set _Z21kernel_adjust_weightsPKfPfS0_S1_i.has_dyn_sized_stack, 0
	.set _Z21kernel_adjust_weightsPKfPfS0_S1_i.has_recursion, 0
	.set _Z21kernel_adjust_weightsPKfPfS0_S1_i.has_indirect_call, 0
	.section	.AMDGPU.csdata,"",@progbits
; Kernel info:
; codeLenInByte = 368
; TotalNumSgprs: 12
; NumVgprs: 9
; ScratchSize: 0
; MemoryBound: 0
; FloatMode: 240
; IeeeMode: 1
; LDSByteSize: 0 bytes/workgroup (compile time only)
; SGPRBlocks: 0
; VGPRBlocks: 0
; NumSGPRsForWavesPerEU: 12
; NumVGPRsForWavesPerEU: 9
; NamedBarCnt: 0
; Occupancy: 16
; WaveLimiterHint : 0
; COMPUTE_PGM_RSRC2:SCRATCH_EN: 0
; COMPUTE_PGM_RSRC2:USER_SGPR: 2
; COMPUTE_PGM_RSRC2:TRAP_HANDLER: 0
; COMPUTE_PGM_RSRC2:TGID_X_EN: 1
; COMPUTE_PGM_RSRC2:TGID_Y_EN: 1
; COMPUTE_PGM_RSRC2:TGID_Z_EN: 0
; COMPUTE_PGM_RSRC2:TIDIG_COMP_CNT: 1
	.text
	.p2alignl 7, 3214868480
	.fill 96, 4, 3214868480
	.section	.AMDGPU.gpr_maximums,"",@progbits
	.set amdgpu.max_num_vgpr, 0
	.set amdgpu.max_num_agpr, 0
	.set amdgpu.max_num_sgpr, 0
	.text
	.type	__hip_cuid_190f94191339808a,@object ; @__hip_cuid_190f94191339808a
	.section	.bss,"aw",@nobits
	.globl	__hip_cuid_190f94191339808a
__hip_cuid_190f94191339808a:
	.byte	0                               ; 0x0
	.size	__hip_cuid_190f94191339808a, 1

	.ident	"AMD clang version 22.0.0git (https://github.com/RadeonOpenCompute/llvm-project roc-7.2.4 26084 f58b06dce1f9c15707c5f808fd002e18c2accf7e)"
	.section	".note.GNU-stack","",@progbits
	.addrsig
	.addrsig_sym __hip_cuid_190f94191339808a
	.amdgpu_metadata
---
amdhsa.kernels:
  - .args:
      - .actual_access:  read_only
        .address_space:  global
        .offset:         0
        .size:           8
        .value_kind:     global_buffer
      - .address_space:  global
        .offset:         8
        .size:           8
        .value_kind:     global_buffer
      - .actual_access:  write_only
        .address_space:  global
        .offset:         16
        .size:           8
        .value_kind:     global_buffer
      - .offset:         24
        .size:           4
        .value_kind:     by_value
    .group_segment_fixed_size: 1088
    .kernarg_segment_align: 8
    .kernarg_segment_size: 28
    .language:       OpenCL C
    .language_version:
      - 2
      - 0
    .max_flat_workgroup_size: 1024
    .name:           _Z19kernel_layerforwardPKfPfS1_i
    .private_segment_fixed_size: 0
    .sgpr_count:     10
    .sgpr_spill_count: 0
    .symbol:         _Z19kernel_layerforwardPKfPfS1_i.kd
    .uniform_work_group_size: 1
    .uses_dynamic_stack: false
    .vgpr_count:     8
    .vgpr_spill_count: 0
    .wavefront_size: 32
  - .args:
      - .actual_access:  read_only
        .address_space:  global
        .offset:         0
        .size:           8
        .value_kind:     global_buffer
      - .address_space:  global
        .offset:         8
        .size:           8
        .value_kind:     global_buffer
      - .actual_access:  read_only
        .address_space:  global
        .offset:         16
        .size:           8
        .value_kind:     global_buffer
      - .address_space:  global
        .offset:         24
        .size:           8
        .value_kind:     global_buffer
      - .offset:         32
        .size:           4
        .value_kind:     by_value
    .group_segment_fixed_size: 0
    .kernarg_segment_align: 8
    .kernarg_segment_size: 36
    .language:       OpenCL C
    .language_version:
      - 2
      - 0
    .max_flat_workgroup_size: 1024
    .name:           _Z21kernel_adjust_weightsPKfPfS0_S1_i
    .private_segment_fixed_size: 0
    .sgpr_count:     12
    .sgpr_spill_count: 0
    .symbol:         _Z21kernel_adjust_weightsPKfPfS0_S1_i.kd
    .uniform_work_group_size: 1
    .uses_dynamic_stack: false
    .vgpr_count:     9
    .vgpr_spill_count: 0
    .wavefront_size: 32
amdhsa.target:   amdgcn-amd-amdhsa--gfx1250
amdhsa.version:
  - 1
  - 2
...

	.end_amdgpu_metadata
